;; amdgpu-corpus repo=ROCm/rocFFT kind=compiled arch=gfx906 opt=O3
	.text
	.amdgcn_target "amdgcn-amd-amdhsa--gfx906"
	.amdhsa_code_object_version 6
	.protected	bluestein_single_back_len1458_dim1_sp_op_CI_CI ; -- Begin function bluestein_single_back_len1458_dim1_sp_op_CI_CI
	.globl	bluestein_single_back_len1458_dim1_sp_op_CI_CI
	.p2align	8
	.type	bluestein_single_back_len1458_dim1_sp_op_CI_CI,@function
bluestein_single_back_len1458_dim1_sp_op_CI_CI: ; @bluestein_single_back_len1458_dim1_sp_op_CI_CI
; %bb.0:
	s_load_dwordx4 s[12:15], s[4:5], 0x28
	v_mul_u32_u24_e32 v1, 0x10e, v0
	v_add_u32_sdwa v40, s6, v1 dst_sel:DWORD dst_unused:UNUSED_PAD src0_sel:DWORD src1_sel:WORD_1
	v_mov_b32_e32 v41, 0
	s_waitcnt lgkmcnt(0)
	v_cmp_gt_u64_e32 vcc, s[12:13], v[40:41]
	s_and_saveexec_b64 s[0:1], vcc
	s_cbranch_execz .LBB0_2
; %bb.1:
	s_load_dwordx4 s[0:3], s[4:5], 0x18
	s_load_dwordx4 s[8:11], s[4:5], 0x0
	s_movk_i32 s6, 0xf3
	v_mul_lo_u16_sdwa v1, v1, s6 dst_sel:DWORD dst_unused:UNUSED_PAD src0_sel:WORD_1 src1_sel:DWORD
	v_sub_u16_e32 v55, v0, v1
	s_waitcnt lgkmcnt(0)
	s_load_dwordx4 s[16:19], s[0:1], 0x0
	v_lshlrev_b32_e32 v56, 3, v55
	s_movk_i32 s7, 0x1000
	v_add_u32_e32 v58, 0xf00, v56
	v_add_u32_e32 v57, 0x1e00, v56
	s_waitcnt lgkmcnt(0)
	v_mad_u64_u32 v[0:1], s[0:1], s18, v40, 0
	v_mad_u64_u32 v[2:3], s[0:1], s16, v55, 0
	v_mov_b32_e32 v33, s11
	v_mad_u64_u32 v[4:5], s[0:1], s19, v40, v[1:2]
	v_mad_u64_u32 v[5:6], s[0:1], s17, v55, v[3:4]
	v_mov_b32_e32 v1, v4
	v_lshlrev_b64 v[0:1], 3, v[0:1]
	v_mov_b32_e32 v6, s15
	v_mov_b32_e32 v3, v5
	v_add_co_u32_e32 v4, vcc, s14, v0
	v_addc_co_u32_e32 v5, vcc, v6, v1, vcc
	v_lshlrev_b64 v[0:1], 3, v[2:3]
	s_mul_i32 s0, s17, 0x798
	v_add_co_u32_e32 v0, vcc, v4, v0
	v_addc_co_u32_e32 v1, vcc, v5, v1, vcc
	v_mov_b32_e32 v4, s9
	v_add_co_u32_e32 v59, vcc, s8, v56
	s_mul_hi_u32 s1, s16, 0x798
	v_addc_co_u32_e32 v60, vcc, 0, v4, vcc
	s_add_i32 s0, s1, s0
	s_mul_i32 s1, s16, 0x798
	global_load_dwordx2 v[2:3], v[0:1], off
	v_mov_b32_e32 v4, s0
	v_add_co_u32_e32 v0, vcc, s1, v0
	v_addc_co_u32_e32 v1, vcc, v1, v4, vcc
	v_mov_b32_e32 v5, s0
	v_add_co_u32_e32 v4, vcc, s1, v0
	v_addc_co_u32_e32 v5, vcc, v1, v5, vcc
	;; [unrolled: 3-line block ×3, first 2 shown]
	global_load_dwordx2 v[51:52], v56, s[8:9]
	global_load_dwordx2 v[49:50], v56, s[8:9] offset:1944
	global_load_dwordx2 v[45:46], v56, s[8:9] offset:3888
	global_load_dwordx2 v[8:9], v[0:1], off
	global_load_dwordx2 v[10:11], v[4:5], off
	global_load_dwordx2 v[12:13], v[6:7], off
	v_add_co_u32_e32 v0, vcc, s7, v59
	v_addc_co_u32_e32 v1, vcc, 0, v60, vcc
	v_mov_b32_e32 v5, s0
	v_add_co_u32_e32 v4, vcc, s1, v6
	v_addc_co_u32_e32 v5, vcc, v7, v5, vcc
	global_load_dwordx2 v[6:7], v[4:5], off
	global_load_dwordx2 v[47:48], v[0:1], off offset:1736
	global_load_dwordx2 v[43:44], v[0:1], off offset:3680
	v_mov_b32_e32 v1, s0
	v_add_co_u32_e32 v0, vcc, s1, v4
	v_addc_co_u32_e32 v1, vcc, v5, v1, vcc
	s_movk_i32 s0, 0x2000
	v_add_co_u32_e32 v53, vcc, s0, v59
	v_addc_co_u32_e32 v54, vcc, 0, v60, vcc
	global_load_dwordx2 v[41:42], v[53:54], off offset:1528
	global_load_dwordx2 v[4:5], v[0:1], off
	s_load_dwordx4 s[0:3], s[2:3], 0x0
	v_add_co_u32_e32 v32, vcc, s6, v55
	s_movk_i32 s6, 0xab
	s_movk_i32 s8, 0xa2
	s_waitcnt vmcnt(10)
	v_mul_f32_e32 v0, v3, v52
	v_mul_f32_e32 v1, v2, v52
	v_fmac_f32_e32 v0, v2, v51
	v_fma_f32 v1, v3, v51, -v1
	s_waitcnt vmcnt(7)
	v_mul_f32_e32 v2, v9, v50
	v_mul_f32_e32 v3, v8, v50
	v_fmac_f32_e32 v2, v8, v49
	v_fma_f32 v3, v9, v49, -v3
	s_waitcnt vmcnt(6)
	v_mul_f32_e32 v8, v11, v46
	v_mul_f32_e32 v9, v10, v46
	ds_write2_b64 v56, v[0:1], v[2:3] offset1:243
	v_fmac_f32_e32 v8, v10, v45
	s_waitcnt vmcnt(3)
	v_mul_f32_e32 v0, v13, v48
	v_mul_f32_e32 v1, v12, v48
	v_fma_f32 v9, v11, v45, -v9
	v_fmac_f32_e32 v0, v12, v47
	v_fma_f32 v1, v13, v47, -v1
	s_waitcnt vmcnt(2)
	v_mul_f32_e32 v2, v7, v44
	v_mul_f32_e32 v3, v6, v44
	ds_write2_b64 v58, v[8:9], v[0:1] offset0:6 offset1:249
	v_fmac_f32_e32 v2, v6, v43
	v_fma_f32 v3, v7, v43, -v3
	s_waitcnt vmcnt(0)
	v_mul_f32_e32 v0, v5, v42
	v_mul_f32_e32 v1, v4, v42
	v_fmac_f32_e32 v0, v4, v41
	v_fma_f32 v1, v5, v41, -v1
	ds_write2_b64 v57, v[2:3], v[0:1] offset0:12 offset1:255
	s_waitcnt lgkmcnt(0)
	s_barrier
	ds_read2_b64 v[0:3], v56 offset1:243
	ds_read2_b64 v[4:7], v58 offset0:6 offset1:249
	ds_read2_b64 v[8:11], v57 offset0:12 offset1:255
	s_waitcnt lgkmcnt(0)
	s_barrier
	v_add_f32_e32 v12, v0, v4
	v_add_f32_e32 v13, v4, v8
	v_sub_f32_e32 v4, v4, v8
	v_add_f32_e32 v8, v12, v8
	v_fma_f32 v12, -0.5, v13, v0
	v_sub_f32_e32 v14, v5, v9
	v_add_f32_e32 v15, v1, v5
	v_add_f32_e32 v5, v5, v9
	v_mov_b32_e32 v13, v12
	v_add_f32_e32 v17, v6, v10
	v_sub_f32_e32 v18, v7, v11
	v_add_f32_e32 v19, v3, v7
	v_add_f32_e32 v7, v7, v11
	v_fmac_f32_e32 v13, 0x3f5db3d7, v14
	v_fmac_f32_e32 v12, 0xbf5db3d7, v14
	v_fma_f32 v14, -0.5, v5, v1
	v_add_f32_e32 v9, v15, v9
	v_mov_b32_e32 v15, v14
	v_fma_f32 v5, -0.5, v17, v2
	v_fmac_f32_e32 v3, -0.5, v7
	v_add_f32_e32 v16, v2, v6
	v_sub_f32_e32 v6, v6, v10
	v_fmac_f32_e32 v15, 0xbf5db3d7, v4
	v_fmac_f32_e32 v14, 0x3f5db3d7, v4
	v_mov_b32_e32 v1, v5
	v_fmac_f32_e32 v5, 0xbf5db3d7, v18
	v_mov_b32_e32 v4, v3
	v_add_f32_e32 v10, v16, v10
	v_fmac_f32_e32 v1, 0x3f5db3d7, v18
	v_fmac_f32_e32 v4, 0xbf5db3d7, v6
	;; [unrolled: 1-line block ×3, first 2 shown]
	v_mul_f32_e32 v16, -0.5, v5
	v_mul_f32_e32 v7, 0x3f5db3d7, v4
	v_fmac_f32_e32 v16, 0x3f5db3d7, v3
	v_mul_f32_e32 v17, 0xbf5db3d7, v1
	v_add_f32_e32 v11, v19, v11
	v_add_f32_e32 v0, v8, v10
	v_fmac_f32_e32 v7, 0.5, v1
	v_fmac_f32_e32 v17, 0.5, v4
	v_mul_f32_e32 v18, -0.5, v3
	v_add_f32_e32 v4, v12, v16
	v_sub_f32_e32 v6, v8, v10
	v_sub_f32_e32 v10, v12, v16
	v_mul_lo_u16_e32 v12, 6, v55
	v_add_f32_e32 v2, v13, v7
	v_add_f32_e32 v1, v9, v11
	;; [unrolled: 1-line block ×3, first 2 shown]
	v_fmac_f32_e32 v18, 0xbf5db3d7, v5
	v_lshlrev_b32_e32 v61, 3, v12
	v_add_f32_e32 v5, v14, v18
	v_sub_f32_e32 v8, v13, v7
	v_sub_f32_e32 v7, v9, v11
	;; [unrolled: 1-line block ×4, first 2 shown]
	ds_write_b128 v61, v[0:3]
	ds_write_b128 v61, v[4:7] offset:16
	ds_write_b128 v61, v[8:11] offset:32
	v_mul_lo_u16_sdwa v0, v55, s6 dst_sel:DWORD dst_unused:UNUSED_PAD src0_sel:BYTE_0 src1_sel:DWORD
	v_lshrrev_b16_e32 v16, 10, v0
	v_mul_lo_u16_e32 v0, 6, v16
	v_sub_u16_e32 v0, v55, v0
	v_and_b32_e32 v17, 0xff, v0
	s_mov_b32 s6, 0xaaab
	v_lshlrev_b32_e32 v0, 4, v17
	v_mul_u32_u24_sdwa v1, v32, s6 dst_sel:DWORD dst_unused:UNUSED_PAD src0_sel:WORD_0 src1_sel:DWORD
	s_waitcnt lgkmcnt(0)
	s_barrier
	v_lshrrev_b32_e32 v18, 18, v1
	global_load_dwordx4 v[4:7], v0, s[10:11]
	v_mul_lo_u16_e32 v0, 6, v18
	v_sub_u16_e32 v19, v32, v0
	v_lshlrev_b16_e32 v0, 1, v19
	v_lshlrev_b32_e32 v0, 3, v0
	global_load_dwordx4 v[0:3], v0, s[10:11]
	ds_read2_b64 v[8:11], v58 offset0:6 offset1:249
	s_mov_b32 s6, 0xe38f
	s_waitcnt vmcnt(1) lgkmcnt(0)
	v_mul_f32_e32 v12, v9, v5
	v_fma_f32 v20, v8, v4, -v12
	ds_read2_b64 v[12:15], v57 offset0:12 offset1:255
	v_mul_f32_e32 v21, v8, v5
	v_fmac_f32_e32 v21, v9, v4
	s_waitcnt vmcnt(0)
	v_mul_f32_e32 v8, v11, v1
	v_fma_f32 v22, v10, v0, -v8
	v_mul_f32_e32 v23, v10, v1
	s_waitcnt lgkmcnt(0)
	v_mul_f32_e32 v8, v13, v7
	v_fmac_f32_e32 v23, v11, v0
	v_fma_f32 v24, v12, v6, -v8
	ds_read2_b64 v[8:11], v56 offset1:243
	v_mul_f32_e32 v25, v12, v7
	v_fmac_f32_e32 v25, v13, v6
	v_mul_f32_e32 v12, v15, v3
	v_mul_f32_e32 v27, v14, v3
	v_fma_f32 v26, v14, v2, -v12
	v_fmac_f32_e32 v27, v15, v2
	v_add_f32_e32 v14, v21, v25
	v_add_f32_e32 v15, v20, v24
	s_waitcnt lgkmcnt(0)
	v_add_f32_e32 v12, v8, v20
	v_add_f32_e32 v13, v9, v21
	v_sub_f32_e32 v28, v21, v25
	v_fma_f32 v8, -0.5, v15, v8
	v_fma_f32 v9, -0.5, v14, v9
	v_sub_f32_e32 v20, v20, v24
	v_mul_u32_u24_e32 v14, 18, v16
	v_add_lshl_u32 v62, v14, v17, 3
	v_mov_b32_e32 v14, v8
	v_mov_b32_e32 v15, v9
	v_fmac_f32_e32 v8, 0xbf5db3d7, v28
	v_fmac_f32_e32 v9, 0x3f5db3d7, v20
	s_barrier
	ds_write_b64 v62, v[8:9] offset:96
	v_add_f32_e32 v8, v22, v26
	v_add_f32_e32 v12, v12, v24
	;; [unrolled: 1-line block ×3, first 2 shown]
	v_fmac_f32_e32 v14, 0x3f5db3d7, v28
	v_fmac_f32_e32 v15, 0xbf5db3d7, v20
	v_add_f32_e32 v9, v10, v22
	v_fma_f32 v10, -0.5, v8, v10
	ds_write2_b64 v62, v[12:13], v[14:15] offset1:6
	v_sub_f32_e32 v12, v23, v27
	v_mov_b32_e32 v8, v10
	v_fmac_f32_e32 v8, 0x3f5db3d7, v12
	v_fmac_f32_e32 v10, 0xbf5db3d7, v12
	v_add_f32_e32 v12, v9, v26
	v_add_f32_e32 v9, v11, v23
	v_add_f32_e32 v13, v9, v27
	v_add_f32_e32 v9, v23, v27
	v_fmac_f32_e32 v11, -0.5, v9
	v_sub_f32_e32 v14, v22, v26
	v_mov_b32_e32 v9, v11
	v_fmac_f32_e32 v9, 0xbf5db3d7, v14
	v_fmac_f32_e32 v11, 0x3f5db3d7, v14
	v_mad_legacy_u16 v14, v18, 18, v19
	v_lshlrev_b32_e32 v63, 3, v14
	ds_write2_b64 v63, v[12:13], v[8:9] offset1:6
	ds_write_b64 v63, v[10:11] offset:96
	v_mov_b32_e32 v8, 57
	v_mul_lo_u16_sdwa v8, v55, v8 dst_sel:DWORD dst_unused:UNUSED_PAD src0_sel:BYTE_0 src1_sel:DWORD
	v_lshrrev_b16_e32 v24, 10, v8
	v_mul_lo_u16_e32 v8, 18, v24
	v_sub_u16_e32 v8, v55, v8
	v_and_b32_e32 v25, 0xff, v8
	v_mul_u32_u24_sdwa v9, v32, s6 dst_sel:DWORD dst_unused:UNUSED_PAD src0_sel:WORD_0 src1_sel:DWORD
	v_lshlrev_b32_e32 v8, 4, v25
	v_lshrrev_b32_e32 v26, 20, v9
	s_waitcnt lgkmcnt(0)
	s_barrier
	v_mul_lo_u16_e32 v9, 18, v26
	global_load_dwordx4 v[12:15], v8, s[10:11] offset:96
	v_sub_u16_e32 v27, v32, v9
	v_lshlrev_b16_e32 v9, 4, v27
	v_add_co_u32_e32 v8, vcc, s10, v9
	v_addc_co_u32_e32 v9, vcc, 0, v33, vcc
	global_load_dwordx4 v[8:11], v[8:9], off offset:96
	ds_read2_b64 v[16:19], v58 offset0:6 offset1:249
	s_movk_i32 s6, 0xff5e
	s_waitcnt vmcnt(1) lgkmcnt(0)
	v_mul_f32_e32 v20, v17, v13
	v_fma_f32 v29, v16, v12, -v20
	ds_read2_b64 v[20:23], v57 offset0:12 offset1:255
	v_mul_f32_e32 v28, v16, v13
	v_fmac_f32_e32 v28, v17, v12
	s_waitcnt vmcnt(0)
	v_mul_f32_e32 v16, v19, v9
	v_fma_f32 v30, v18, v8, -v16
	v_mul_f32_e32 v31, v18, v9
	s_waitcnt lgkmcnt(0)
	v_mul_f32_e32 v16, v21, v15
	v_fmac_f32_e32 v31, v19, v8
	v_fma_f32 v34, v20, v14, -v16
	ds_read2_b64 v[16:19], v56 offset1:243
	v_mul_f32_e32 v35, v20, v15
	v_fmac_f32_e32 v35, v21, v14
	v_mul_f32_e32 v20, v23, v11
	v_mul_f32_e32 v37, v22, v11
	v_fma_f32 v36, v22, v10, -v20
	v_fmac_f32_e32 v37, v23, v10
	v_add_f32_e32 v22, v28, v35
	v_add_f32_e32 v23, v29, v34
	s_waitcnt lgkmcnt(0)
	v_add_f32_e32 v20, v16, v29
	v_add_f32_e32 v21, v17, v28
	v_fma_f32 v16, -0.5, v23, v16
	v_fma_f32 v17, -0.5, v22, v17
	v_mul_u32_u24_e32 v22, 54, v24
	v_sub_f32_e32 v38, v28, v35
	v_sub_f32_e32 v28, v29, v34
	v_add_lshl_u32 v64, v22, v25, 3
	v_mov_b32_e32 v22, v16
	v_mov_b32_e32 v23, v17
	v_add_f32_e32 v20, v20, v34
	v_add_f32_e32 v21, v21, v35
	v_fmac_f32_e32 v22, 0x3f5db3d7, v38
	v_fmac_f32_e32 v23, 0xbf5db3d7, v28
	;; [unrolled: 1-line block ×4, first 2 shown]
	s_barrier
	ds_write2_b64 v64, v[20:21], v[22:23] offset1:18
	ds_write_b64 v64, v[16:17] offset:288
	v_add_f32_e32 v17, v30, v36
	v_add_f32_e32 v20, v31, v37
	;; [unrolled: 1-line block ×3, first 2 shown]
	v_fma_f32 v18, -0.5, v17, v18
	v_add_f32_e32 v17, v19, v31
	v_fmac_f32_e32 v19, -0.5, v20
	v_sub_f32_e32 v22, v31, v37
	v_sub_f32_e32 v23, v30, v36
	v_mad_legacy_u16 v24, v26, 54, v27
	v_mov_b32_e32 v20, v18
	v_mov_b32_e32 v21, v19
	v_add_f32_e32 v16, v16, v36
	v_add_f32_e32 v17, v17, v37
	v_fmac_f32_e32 v20, 0x3f5db3d7, v22
	v_fmac_f32_e32 v21, 0xbf5db3d7, v23
	v_lshlrev_b32_e32 v65, 3, v24
	ds_write2_b64 v65, v[16:17], v[20:21] offset1:18
	v_mov_b32_e32 v16, 19
	v_mul_lo_u16_sdwa v16, v55, v16 dst_sel:DWORD dst_unused:UNUSED_PAD src0_sel:BYTE_0 src1_sel:DWORD
	v_lshrrev_b16_e32 v34, 10, v16
	v_mul_lo_u16_e32 v16, 54, v34
	v_sub_u16_e32 v16, v55, v16
	v_and_b32_e32 v35, 0xff, v16
	v_lshrrev_b16_e32 v16, 1, v32
	v_mul_u32_u24_e32 v16, 0x97b5, v16
	v_lshrrev_b32_e32 v36, 20, v16
	v_mul_lo_u16_e32 v16, 54, v36
	v_sub_u16_e32 v37, v32, v16
	v_lshlrev_b16_e32 v16, 4, v37
	v_fmac_f32_e32 v18, 0xbf5db3d7, v22
	v_fmac_f32_e32 v19, 0x3f5db3d7, v23
	v_lshlrev_b32_e32 v17, 4, v35
	v_add_co_u32_e32 v16, vcc, s10, v16
	ds_write_b64 v65, v[18:19] offset:288
	s_waitcnt lgkmcnt(0)
	s_barrier
	global_load_dwordx4 v[20:23], v17, s[10:11] offset:384
	v_addc_co_u32_e32 v17, vcc, 0, v33, vcc
	global_load_dwordx4 v[16:19], v[16:17], off offset:384
	ds_read2_b64 v[24:27], v58 offset0:6 offset1:249
	ds_read2_b64 v[28:31], v57 offset0:12 offset1:255
	s_waitcnt vmcnt(1) lgkmcnt(1)
	v_mul_f32_e32 v38, v25, v21
	v_mul_f32_e32 v39, v24, v21
	v_fma_f32 v38, v24, v20, -v38
	s_waitcnt vmcnt(0)
	v_mul_f32_e32 v24, v27, v17
	v_fma_f32 v67, v26, v16, -v24
	v_mul_f32_e32 v68, v26, v17
	s_waitcnt lgkmcnt(0)
	v_mul_f32_e32 v24, v29, v23
	v_fmac_f32_e32 v39, v25, v20
	v_fmac_f32_e32 v68, v27, v16
	v_fma_f32 v66, v28, v22, -v24
	ds_read2_b64 v[24:27], v56 offset1:243
	v_mul_f32_e32 v69, v28, v23
	v_fmac_f32_e32 v69, v29, v22
	v_mul_f32_e32 v28, v31, v19
	v_mul_f32_e32 v71, v30, v19
	v_fma_f32 v70, v30, v18, -v28
	v_fmac_f32_e32 v71, v31, v18
	v_add_f32_e32 v30, v39, v69
	v_add_f32_e32 v31, v38, v66
	s_waitcnt lgkmcnt(0)
	v_add_f32_e32 v28, v24, v38
	v_add_f32_e32 v29, v25, v39
	v_fma_f32 v24, -0.5, v31, v24
	v_fma_f32 v25, -0.5, v30, v25
	v_mul_u32_u24_e32 v30, 0xa2, v34
	v_add_f32_e32 v28, v28, v66
	v_sub_f32_e32 v72, v39, v69
	v_sub_f32_e32 v38, v38, v66
	v_add_lshl_u32 v66, v30, v35, 3
	v_mov_b32_e32 v30, v24
	v_mov_b32_e32 v31, v25
	v_add_f32_e32 v29, v29, v69
	v_fmac_f32_e32 v30, 0x3f5db3d7, v72
	v_fmac_f32_e32 v31, 0xbf5db3d7, v38
	;; [unrolled: 1-line block ×4, first 2 shown]
	s_barrier
	ds_write2_b64 v66, v[28:29], v[30:31] offset1:54
	ds_write_b64 v66, v[24:25] offset:864
	v_add_f32_e32 v25, v67, v70
	v_add_f32_e32 v28, v68, v71
	v_add_f32_e32 v24, v26, v67
	v_fma_f32 v26, -0.5, v25, v26
	v_add_f32_e32 v25, v27, v68
	v_fmac_f32_e32 v27, -0.5, v28
	v_sub_f32_e32 v30, v68, v71
	v_sub_f32_e32 v31, v67, v70
	v_mad_legacy_u16 v34, v36, s8, v37
	v_mov_b32_e32 v28, v26
	v_mov_b32_e32 v29, v27
	v_add_f32_e32 v24, v24, v70
	v_add_f32_e32 v25, v25, v71
	v_fmac_f32_e32 v28, 0x3f5db3d7, v30
	v_fmac_f32_e32 v29, 0xbf5db3d7, v31
	v_lshlrev_b32_e32 v67, 3, v34
	ds_write2_b64 v67, v[24:25], v[28:29] offset1:54
	v_add_co_u32_e32 v24, vcc, s6, v55
	v_addc_co_u32_e64 v25, s[6:7], 0, -1, vcc
	v_fmac_f32_e32 v26, 0xbf5db3d7, v30
	v_fmac_f32_e32 v27, 0x3f5db3d7, v31
	v_cmp_gt_u16_e32 vcc, s8, v55
	s_movk_i32 s6, 0x6523
	ds_write_b64 v67, v[26:27] offset:864
	v_cndmask_b32_e64 v38, v25, 0, vcc
	v_cndmask_b32_e32 v37, v24, v55, vcc
	v_mul_u32_u24_sdwa v26, v32, s6 dst_sel:DWORD dst_unused:UNUSED_PAD src0_sel:WORD_0 src1_sel:DWORD
	v_lshlrev_b64 v[24:25], 4, v[37:38]
	v_lshrrev_b32_e32 v39, 22, v26
	v_mul_lo_u16_e32 v26, 0xa2, v39
	v_add_co_u32_e32 v24, vcc, s10, v24
	v_sub_u16_e32 v72, v32, v26
	v_addc_co_u32_e32 v25, vcc, v33, v25, vcc
	v_lshlrev_b16_e32 v26, 4, v72
	s_waitcnt lgkmcnt(0)
	s_barrier
	global_load_dwordx4 v[28:31], v[24:25], off offset:1248
	v_add_co_u32_e32 v24, vcc, s10, v26
	v_addc_co_u32_e32 v25, vcc, 0, v33, vcc
	global_load_dwordx4 v[24:27], v[24:25], off offset:1248
	ds_read2_b64 v[33:36], v58 offset0:6 offset1:249
	ds_read2_b64 v[68:71], v57 offset0:12 offset1:255
	s_movk_i32 s6, 0xa1
	v_cmp_lt_u16_e32 vcc, s6, v55
	s_movk_i32 s6, 0x1e6
	v_mad_legacy_u16 v39, v39, s6, v72
	v_lshlrev_b32_e32 v32, 4, v32
	s_movk_i32 s6, 0x2d90
	s_waitcnt vmcnt(1) lgkmcnt(1)
	v_mul_f32_e32 v38, v34, v29
	v_fma_f32 v73, v33, v28, -v38
	v_mul_f32_e32 v74, v33, v29
	v_fmac_f32_e32 v74, v34, v28
	s_waitcnt lgkmcnt(0)
	v_mul_f32_e32 v78, v68, v31
	s_waitcnt vmcnt(0)
	v_mul_f32_e32 v33, v36, v25
	v_fma_f32 v75, v35, v24, -v33
	v_mul_f32_e32 v33, v69, v31
	v_mul_f32_e32 v76, v35, v25
	v_fma_f32 v77, v68, v30, -v33
	v_mul_f32_e32 v33, v71, v27
	v_fmac_f32_e32 v76, v36, v24
	v_fma_f32 v79, v70, v26, -v33
	ds_read2_b64 v[33:36], v56 offset1:243
	v_fmac_f32_e32 v78, v69, v30
	v_mov_b32_e32 v38, 0x1e6
	v_mul_f32_e32 v80, v70, v27
	v_cndmask_b32_e32 v38, 0, v38, vcc
	v_add_f32_e32 v69, v74, v78
	v_add_f32_e32 v70, v73, v77
	v_add_lshl_u32 v68, v37, v38, 3
	s_waitcnt lgkmcnt(0)
	v_add_f32_e32 v37, v33, v73
	v_add_f32_e32 v38, v34, v74
	v_fma_f32 v33, -0.5, v70, v33
	v_fma_f32 v34, -0.5, v69, v34
	v_fmac_f32_e32 v80, v71, v26
	v_sub_f32_e32 v71, v74, v78
	v_sub_f32_e32 v73, v73, v77
	v_mov_b32_e32 v69, v33
	v_mov_b32_e32 v70, v34
	v_add_f32_e32 v37, v37, v77
	v_add_f32_e32 v38, v38, v78
	v_fmac_f32_e32 v69, 0x3f5db3d7, v71
	v_fmac_f32_e32 v70, 0xbf5db3d7, v73
	;; [unrolled: 1-line block ×4, first 2 shown]
	s_barrier
	ds_write2_b64 v68, v[37:38], v[69:70] offset1:162
	ds_write_b64 v68, v[33:34] offset:2592
	v_add_f32_e32 v34, v75, v79
	v_add_f32_e32 v37, v76, v80
	v_add_f32_e32 v33, v35, v75
	v_fma_f32 v35, -0.5, v34, v35
	v_add_f32_e32 v34, v36, v76
	v_fmac_f32_e32 v36, -0.5, v37
	v_sub_f32_e32 v70, v76, v80
	v_sub_f32_e32 v71, v75, v79
	v_mov_b32_e32 v37, v35
	v_mov_b32_e32 v38, v36
	v_add_f32_e32 v33, v33, v79
	v_add_f32_e32 v34, v34, v80
	v_fmac_f32_e32 v37, 0x3f5db3d7, v70
	v_fmac_f32_e32 v38, 0xbf5db3d7, v71
	v_lshlrev_b32_e32 v69, 3, v39
	ds_write2_b64 v69, v[33:34], v[37:38] offset1:162
	v_fmac_f32_e32 v35, 0xbf5db3d7, v70
	v_fmac_f32_e32 v36, 0x3f5db3d7, v71
	v_lshlrev_b32_e32 v33, 4, v55
	ds_write_b64 v69, v[35:36] offset:2592
	s_waitcnt lgkmcnt(0)
	s_barrier
	global_load_dwordx4 v[36:39], v33, s[10:11] offset:3840
	s_nop 0
	global_load_dwordx4 v[32:35], v32, s[10:11] offset:3840
	ds_read2_b64 v[70:73], v58 offset0:6 offset1:249
	ds_read2_b64 v[74:77], v57 offset0:12 offset1:255
	s_waitcnt vmcnt(1) lgkmcnt(1)
	v_mul_f32_e32 v78, v71, v37
	v_mul_f32_e32 v79, v70, v37
	s_waitcnt vmcnt(0)
	v_mul_f32_e32 v80, v73, v33
	v_mul_f32_e32 v81, v72, v33
	v_fma_f32 v78, v70, v36, -v78
	v_fmac_f32_e32 v79, v71, v36
	v_fma_f32 v80, v72, v32, -v80
	v_fmac_f32_e32 v81, v73, v32
	ds_read2_b64 v[70:73], v56 offset1:243
	s_waitcnt lgkmcnt(1)
	v_mul_f32_e32 v82, v75, v39
	v_mul_f32_e32 v83, v74, v39
	v_fma_f32 v82, v74, v38, -v82
	v_fmac_f32_e32 v83, v75, v38
	v_mul_f32_e32 v74, v77, v35
	v_mul_f32_e32 v85, v76, v35
	v_fma_f32 v84, v76, v34, -v74
	v_fmac_f32_e32 v85, v77, v34
	v_add_f32_e32 v76, v79, v83
	v_add_f32_e32 v77, v78, v82
	s_waitcnt lgkmcnt(0)
	v_add_f32_e32 v74, v70, v78
	v_add_f32_e32 v75, v71, v79
	v_sub_f32_e32 v86, v79, v83
	v_fma_f32 v70, -0.5, v77, v70
	v_fma_f32 v71, -0.5, v76, v71
	v_sub_f32_e32 v78, v78, v82
	v_mov_b32_e32 v76, v70
	v_mov_b32_e32 v77, v71
	v_fmac_f32_e32 v70, 0xbf5db3d7, v86
	v_fmac_f32_e32 v71, 0x3f5db3d7, v78
	ds_write_b64 v56, v[70:71] offset:7776
	v_add_f32_e32 v70, v72, v80
	v_add_f32_e32 v71, v73, v81
	;; [unrolled: 1-line block ×4, first 2 shown]
	v_fmac_f32_e32 v76, 0x3f5db3d7, v86
	v_fmac_f32_e32 v77, 0xbf5db3d7, v78
	v_add_f32_e32 v70, v70, v84
	v_add_f32_e32 v71, v71, v85
	ds_write_b64 v56, v[76:77] offset:3888
	ds_write2_b64 v56, v[74:75], v[70:71] offset1:243
	v_add_f32_e32 v70, v80, v84
	v_fma_f32 v72, -0.5, v70, v72
	v_add_f32_e32 v70, v81, v85
	v_fmac_f32_e32 v73, -0.5, v70
	v_sub_f32_e32 v74, v81, v85
	v_sub_f32_e32 v75, v80, v84
	v_mov_b32_e32 v70, v72
	v_mov_b32_e32 v71, v73
	v_fmac_f32_e32 v70, 0x3f5db3d7, v74
	v_fmac_f32_e32 v71, 0xbf5db3d7, v75
	ds_write_b64 v56, v[70:71] offset:5832
	v_add_co_u32_e32 v70, vcc, s6, v59
	v_fmac_f32_e32 v72, 0xbf5db3d7, v74
	v_fmac_f32_e32 v73, 0x3f5db3d7, v75
	v_addc_co_u32_e32 v71, vcc, 0, v60, vcc
	ds_write_b64 v56, v[72:73] offset:9720
	s_waitcnt lgkmcnt(0)
	s_barrier
	global_load_dwordx2 v[53:54], v[53:54], off offset:3472
	s_movk_i32 s6, 0x4000
	global_load_dwordx2 v[74:75], v[70:71], off offset:1944
	v_add_co_u32_e32 v72, vcc, s6, v59
	v_addc_co_u32_e32 v73, vcc, 0, v60, vcc
	s_movk_i32 s6, 0x5000
	v_add_co_u32_e32 v59, vcc, s6, v59
	global_load_dwordx2 v[78:79], v[70:71], off offset:3888
	global_load_dwordx2 v[80:81], v[72:73], off offset:1112
	;; [unrolled: 1-line block ×3, first 2 shown]
	v_addc_co_u32_e32 v60, vcc, 0, v60, vcc
	global_load_dwordx2 v[59:60], v[59:60], off offset:904
	ds_read2_b64 v[70:73], v56 offset1:243
	s_waitcnt vmcnt(5) lgkmcnt(0)
	v_mul_f32_e32 v77, v71, v54
	v_mul_f32_e32 v76, v70, v54
	s_waitcnt vmcnt(4)
	v_mul_f32_e32 v84, v73, v75
	v_mul_f32_e32 v54, v72, v75
	v_fma_f32 v75, v70, v53, -v77
	v_fmac_f32_e32 v76, v71, v53
	v_fma_f32 v53, v72, v74, -v84
	v_fmac_f32_e32 v54, v73, v74
	ds_write2_b64 v56, v[75:76], v[53:54] offset1:243
	ds_read2_b64 v[70:73], v58 offset0:6 offset1:249
	ds_read2_b64 v[74:77], v57 offset0:12 offset1:255
	s_waitcnt vmcnt(3) lgkmcnt(1)
	v_mul_f32_e32 v53, v71, v79
	v_mul_f32_e32 v54, v70, v79
	s_waitcnt vmcnt(2)
	v_mul_f32_e32 v84, v73, v81
	v_mul_f32_e32 v79, v72, v81
	s_waitcnt vmcnt(1) lgkmcnt(0)
	v_mul_f32_e32 v85, v75, v83
	v_mul_f32_e32 v81, v74, v83
	s_waitcnt vmcnt(0)
	v_mul_f32_e32 v86, v77, v60
	v_mul_f32_e32 v83, v76, v60
	v_fma_f32 v53, v70, v78, -v53
	v_fmac_f32_e32 v54, v71, v78
	v_fma_f32 v78, v72, v80, -v84
	v_fmac_f32_e32 v79, v73, v80
	v_fma_f32 v80, v74, v82, -v85
	v_fmac_f32_e32 v81, v75, v82
	v_fma_f32 v82, v76, v59, -v86
	v_fmac_f32_e32 v83, v77, v59
	ds_write2_b64 v58, v[53:54], v[78:79] offset0:6 offset1:249
	ds_write2_b64 v57, v[80:81], v[82:83] offset0:12 offset1:255
	s_waitcnt lgkmcnt(0)
	s_barrier
	ds_read2_b64 v[70:73], v56 offset1:243
	ds_read2_b64 v[74:77], v58 offset0:6 offset1:249
	ds_read2_b64 v[78:81], v57 offset0:12 offset1:255
	s_waitcnt lgkmcnt(0)
	s_barrier
	v_add_f32_e32 v85, v73, v77
	v_sub_f32_e32 v84, v77, v81
	v_add_f32_e32 v77, v77, v81
	v_add_f32_e32 v53, v70, v74
	;; [unrolled: 1-line block ×3, first 2 shown]
	v_sub_f32_e32 v82, v74, v78
	v_add_f32_e32 v74, v72, v76
	v_add_f32_e32 v83, v76, v80
	v_fmac_f32_e32 v73, -0.5, v77
	v_sub_f32_e32 v59, v75, v79
	v_add_f32_e32 v60, v71, v75
	v_add_f32_e32 v75, v75, v79
	v_sub_f32_e32 v86, v76, v80
	v_add_f32_e32 v53, v53, v78
	v_add_f32_e32 v78, v74, v80
	v_fma_f32 v80, -0.5, v83, v72
	v_mov_b32_e32 v74, v73
	v_mov_b32_e32 v72, v80
	v_fmac_f32_e32 v74, 0x3f5db3d7, v86
	v_fma_f32 v54, -0.5, v54, v70
	v_fma_f32 v87, -0.5, v75, v71
	v_add_f32_e32 v60, v60, v79
	v_add_f32_e32 v79, v85, v81
	v_fmac_f32_e32 v72, 0xbf5db3d7, v84
	v_mul_f32_e32 v81, 0xbf5db3d7, v74
	v_mul_f32_e32 v83, 0.5, v74
	v_mov_b32_e32 v85, v54
	v_mov_b32_e32 v88, v87
	v_fmac_f32_e32 v81, 0.5, v72
	v_fmac_f32_e32 v83, 0x3f5db3d7, v72
	v_fmac_f32_e32 v85, 0xbf5db3d7, v59
	;; [unrolled: 1-line block ×3, first 2 shown]
	v_add_f32_e32 v74, v53, v78
	v_add_f32_e32 v76, v85, v81
	;; [unrolled: 1-line block ×4, first 2 shown]
	v_fmac_f32_e32 v73, 0xbf5db3d7, v86
	ds_write_b128 v61, v[74:77]
	v_mul_f32_e32 v74, 0xbf5db3d7, v73
	v_mul_f32_e32 v75, -0.5, v73
	v_fmac_f32_e32 v80, 0x3f5db3d7, v84
	v_fmac_f32_e32 v54, 0x3f5db3d7, v59
	;; [unrolled: 1-line block ×3, first 2 shown]
	v_fmac_f32_e32 v74, -0.5, v80
	v_fmac_f32_e32 v75, 0x3f5db3d7, v80
	v_sub_f32_e32 v72, v53, v78
	v_sub_f32_e32 v73, v60, v79
	v_add_f32_e32 v70, v54, v74
	v_add_f32_e32 v71, v87, v75
	ds_write_b128 v61, v[70:73] offset:16
	v_sub_f32_e32 v70, v85, v81
	v_sub_f32_e32 v72, v54, v74
	v_sub_f32_e32 v71, v88, v83
	v_sub_f32_e32 v73, v87, v75
	ds_write_b128 v61, v[70:73] offset:32
	s_waitcnt lgkmcnt(0)
	s_barrier
	ds_read2_b64 v[70:73], v58 offset0:6 offset1:249
	ds_read2_b64 v[74:77], v57 offset0:12 offset1:255
	s_waitcnt lgkmcnt(1)
	v_mul_f32_e32 v53, v5, v71
	v_mul_f32_e32 v5, v5, v70
	v_fmac_f32_e32 v53, v4, v70
	v_fma_f32 v54, v4, v71, -v5
	s_waitcnt lgkmcnt(0)
	v_mul_f32_e32 v59, v7, v75
	v_mul_f32_e32 v4, v7, v74
	v_fmac_f32_e32 v59, v6, v74
	v_fma_f32 v60, v6, v75, -v4
	ds_read2_b64 v[4:7], v56 offset1:243
	v_mul_f32_e32 v61, v1, v73
	v_mul_f32_e32 v1, v1, v72
	v_fmac_f32_e32 v61, v0, v72
	v_fma_f32 v70, v0, v73, -v1
	v_mul_f32_e32 v71, v3, v77
	v_mul_f32_e32 v0, v3, v76
	v_fmac_f32_e32 v71, v2, v76
	v_fma_f32 v72, v2, v77, -v0
	v_add_f32_e32 v3, v54, v60
	v_add_f32_e32 v2, v53, v59
	s_waitcnt lgkmcnt(0)
	v_fma_f32 v2, -0.5, v2, v4
	v_fma_f32 v3, -0.5, v3, v5
	v_add_f32_e32 v0, v4, v53
	v_add_f32_e32 v1, v5, v54
	v_sub_f32_e32 v73, v54, v60
	v_sub_f32_e32 v53, v53, v59
	v_mov_b32_e32 v4, v2
	v_mov_b32_e32 v5, v3
	v_add_f32_e32 v0, v0, v59
	v_add_f32_e32 v1, v1, v60
	v_fmac_f32_e32 v4, 0xbf5db3d7, v73
	v_fmac_f32_e32 v5, 0x3f5db3d7, v53
	;; [unrolled: 1-line block ×4, first 2 shown]
	s_barrier
	ds_write2_b64 v62, v[0:1], v[4:5] offset1:6
	ds_write_b64 v62, v[2:3] offset:96
	v_add_f32_e32 v1, v61, v71
	v_add_f32_e32 v2, v70, v72
	;; [unrolled: 1-line block ×3, first 2 shown]
	v_fma_f32 v6, -0.5, v1, v6
	v_add_f32_e32 v1, v7, v70
	v_fmac_f32_e32 v7, -0.5, v2
	v_sub_f32_e32 v4, v70, v72
	v_sub_f32_e32 v5, v61, v71
	v_mov_b32_e32 v2, v6
	v_mov_b32_e32 v3, v7
	v_add_f32_e32 v0, v0, v71
	v_add_f32_e32 v1, v1, v72
	v_fmac_f32_e32 v2, 0xbf5db3d7, v4
	v_fmac_f32_e32 v3, 0x3f5db3d7, v5
	;; [unrolled: 1-line block ×4, first 2 shown]
	ds_write2_b64 v63, v[0:1], v[2:3] offset1:6
	ds_write_b64 v63, v[6:7] offset:96
	s_waitcnt lgkmcnt(0)
	s_barrier
	ds_read2_b64 v[0:3], v58 offset0:6 offset1:249
	ds_read2_b64 v[4:7], v57 offset0:12 offset1:255
	s_waitcnt lgkmcnt(1)
	v_mul_f32_e32 v53, v13, v1
	v_fmac_f32_e32 v53, v12, v0
	v_mul_f32_e32 v0, v13, v0
	v_fma_f32 v12, v12, v1, -v0
	s_waitcnt lgkmcnt(0)
	v_mul_f32_e32 v13, v15, v5
	v_mul_f32_e32 v0, v15, v4
	v_fmac_f32_e32 v13, v14, v4
	v_fma_f32 v14, v14, v5, -v0
	v_mul_f32_e32 v15, v9, v3
	v_mul_f32_e32 v0, v9, v2
	v_fmac_f32_e32 v15, v8, v2
	v_fma_f32 v8, v8, v3, -v0
	ds_read2_b64 v[0:3], v56 offset1:243
	v_mul_f32_e32 v9, v11, v7
	v_mul_f32_e32 v4, v11, v6
	v_fmac_f32_e32 v9, v10, v6
	v_fma_f32 v10, v10, v7, -v4
	v_add_f32_e32 v6, v12, v14
	v_add_f32_e32 v7, v53, v13
	s_waitcnt lgkmcnt(0)
	v_add_f32_e32 v4, v0, v53
	v_add_f32_e32 v5, v1, v12
	v_fma_f32 v0, -0.5, v7, v0
	v_fma_f32 v1, -0.5, v6, v1
	v_sub_f32_e32 v11, v12, v14
	v_sub_f32_e32 v12, v53, v13
	v_mov_b32_e32 v6, v0
	v_mov_b32_e32 v7, v1
	v_add_f32_e32 v4, v4, v13
	v_add_f32_e32 v5, v5, v14
	v_fmac_f32_e32 v6, 0xbf5db3d7, v11
	v_fmac_f32_e32 v7, 0x3f5db3d7, v12
	;; [unrolled: 1-line block ×4, first 2 shown]
	s_barrier
	ds_write2_b64 v64, v[4:5], v[6:7] offset1:18
	ds_write_b64 v64, v[0:1] offset:288
	v_add_f32_e32 v1, v15, v9
	v_add_f32_e32 v4, v8, v10
	;; [unrolled: 1-line block ×3, first 2 shown]
	v_fma_f32 v2, -0.5, v1, v2
	v_add_f32_e32 v1, v3, v8
	v_fmac_f32_e32 v3, -0.5, v4
	v_sub_f32_e32 v6, v8, v10
	v_sub_f32_e32 v7, v15, v9
	v_mov_b32_e32 v4, v2
	v_mov_b32_e32 v5, v3
	v_add_f32_e32 v0, v0, v9
	v_add_f32_e32 v1, v1, v10
	v_fmac_f32_e32 v4, 0xbf5db3d7, v6
	v_fmac_f32_e32 v5, 0x3f5db3d7, v7
	;; [unrolled: 1-line block ×4, first 2 shown]
	ds_write2_b64 v65, v[0:1], v[4:5] offset1:18
	ds_write_b64 v65, v[2:3] offset:288
	s_waitcnt lgkmcnt(0)
	s_barrier
	ds_read2_b64 v[0:3], v58 offset0:6 offset1:249
	ds_read2_b64 v[4:7], v57 offset0:12 offset1:255
	s_waitcnt lgkmcnt(1)
	v_mul_f32_e32 v8, v21, v1
	v_fmac_f32_e32 v8, v20, v0
	v_mul_f32_e32 v0, v21, v0
	v_fma_f32 v9, v20, v1, -v0
	s_waitcnt lgkmcnt(0)
	v_mul_f32_e32 v0, v23, v4
	v_fma_f32 v11, v22, v5, -v0
	v_mul_f32_e32 v12, v17, v3
	v_mul_f32_e32 v0, v17, v2
	v_fmac_f32_e32 v12, v16, v2
	v_fma_f32 v13, v16, v3, -v0
	ds_read2_b64 v[0:3], v56 offset1:243
	v_mul_f32_e32 v10, v23, v5
	v_fmac_f32_e32 v10, v22, v4
	v_mul_f32_e32 v14, v19, v7
	v_mul_f32_e32 v4, v19, v6
	v_fmac_f32_e32 v14, v18, v6
	v_fma_f32 v15, v18, v7, -v4
	v_add_f32_e32 v6, v9, v11
	v_add_f32_e32 v7, v8, v10
	s_waitcnt lgkmcnt(0)
	v_add_f32_e32 v4, v0, v8
	v_add_f32_e32 v5, v1, v9
	v_fma_f32 v0, -0.5, v7, v0
	v_fma_f32 v1, -0.5, v6, v1
	v_sub_f32_e32 v16, v9, v11
	v_sub_f32_e32 v8, v8, v10
	v_mov_b32_e32 v6, v0
	v_mov_b32_e32 v7, v1
	v_add_f32_e32 v4, v4, v10
	v_add_f32_e32 v5, v5, v11
	v_fmac_f32_e32 v6, 0xbf5db3d7, v16
	v_fmac_f32_e32 v7, 0x3f5db3d7, v8
	;; [unrolled: 1-line block ×4, first 2 shown]
	s_barrier
	ds_write2_b64 v66, v[4:5], v[6:7] offset1:54
	ds_write_b64 v66, v[0:1] offset:864
	v_add_f32_e32 v1, v12, v14
	v_add_f32_e32 v4, v13, v15
	;; [unrolled: 1-line block ×3, first 2 shown]
	v_fma_f32 v2, -0.5, v1, v2
	v_add_f32_e32 v1, v3, v13
	v_fmac_f32_e32 v3, -0.5, v4
	v_sub_f32_e32 v6, v13, v15
	v_sub_f32_e32 v7, v12, v14
	v_mov_b32_e32 v4, v2
	v_mov_b32_e32 v5, v3
	v_add_f32_e32 v0, v0, v14
	v_add_f32_e32 v1, v1, v15
	v_fmac_f32_e32 v4, 0xbf5db3d7, v6
	v_fmac_f32_e32 v5, 0x3f5db3d7, v7
	;; [unrolled: 1-line block ×4, first 2 shown]
	ds_write2_b64 v67, v[0:1], v[4:5] offset1:54
	ds_write_b64 v67, v[2:3] offset:864
	s_waitcnt lgkmcnt(0)
	s_barrier
	ds_read2_b64 v[0:3], v58 offset0:6 offset1:249
	ds_read2_b64 v[4:7], v57 offset0:12 offset1:255
	s_waitcnt lgkmcnt(1)
	v_mul_f32_e32 v10, v29, v1
	v_fmac_f32_e32 v10, v28, v0
	v_mul_f32_e32 v0, v29, v0
	v_fma_f32 v11, v28, v1, -v0
	s_waitcnt lgkmcnt(0)
	v_mul_f32_e32 v0, v31, v4
	v_mul_f32_e32 v12, v31, v5
	v_fma_f32 v5, v30, v5, -v0
	v_mul_f32_e32 v13, v25, v3
	v_mul_f32_e32 v0, v25, v2
	v_fmac_f32_e32 v13, v24, v2
	v_fma_f32 v14, v24, v3, -v0
	ds_read2_b64 v[0:3], v56 offset1:243
	v_fmac_f32_e32 v12, v30, v4
	v_mul_f32_e32 v4, v27, v6
	v_fma_f32 v16, v26, v7, -v4
	v_add_f32_e32 v4, v10, v12
	s_waitcnt lgkmcnt(0)
	v_fma_f32 v4, -0.5, v4, v0
	v_add_f32_e32 v0, v0, v10
	v_add_f32_e32 v8, v0, v12
	;; [unrolled: 1-line block ×3, first 2 shown]
	v_mul_f32_e32 v15, v27, v7
	v_add_f32_e32 v9, v0, v5
	v_add_f32_e32 v0, v11, v5
	v_fmac_f32_e32 v15, v26, v6
	v_sub_f32_e32 v7, v11, v5
	v_mov_b32_e32 v6, v4
	v_fma_f32 v5, -0.5, v0, v1
	v_fmac_f32_e32 v6, 0xbf5db3d7, v7
	v_fmac_f32_e32 v4, 0x3f5db3d7, v7
	v_sub_f32_e32 v0, v10, v12
	v_mov_b32_e32 v7, v5
	v_fmac_f32_e32 v7, 0x3f5db3d7, v0
	v_fmac_f32_e32 v5, 0xbf5db3d7, v0
	v_add_f32_e32 v0, v13, v15
	v_add_f32_e32 v1, v2, v13
	v_fma_f32 v2, -0.5, v0, v2
	v_sub_f32_e32 v10, v14, v16
	v_mov_b32_e32 v0, v2
	v_fmac_f32_e32 v0, 0xbf5db3d7, v10
	v_fmac_f32_e32 v2, 0x3f5db3d7, v10
	v_add_f32_e32 v10, v1, v15
	v_add_f32_e32 v1, v3, v14
	v_add_f32_e32 v11, v1, v16
	v_add_f32_e32 v1, v14, v16
	v_fmac_f32_e32 v3, -0.5, v1
	v_sub_f32_e32 v12, v13, v15
	v_mov_b32_e32 v1, v3
	v_fmac_f32_e32 v1, 0x3f5db3d7, v12
	v_fmac_f32_e32 v3, 0xbf5db3d7, v12
	s_barrier
	ds_write2_b64 v68, v[8:9], v[6:7] offset1:162
	ds_write_b64 v68, v[4:5] offset:2592
	ds_write2_b64 v69, v[10:11], v[0:1] offset1:162
	ds_write_b64 v69, v[2:3] offset:2592
	s_waitcnt lgkmcnt(0)
	s_barrier
	ds_read2_b64 v[0:3], v58 offset0:6 offset1:249
	ds_read2_b64 v[4:7], v56 offset1:243
	ds_read2_b64 v[8:11], v57 offset0:12 offset1:255
	v_mad_u64_u32 v[12:13], s[6:7], s2, v40, 0
	s_load_dwordx2 s[6:7], s[4:5], 0x38
	s_waitcnt lgkmcnt(0)
	v_mul_f32_e32 v14, v37, v1
	v_fmac_f32_e32 v14, v36, v0
	v_mul_f32_e32 v0, v37, v0
	v_mul_f32_e32 v16, v39, v9
	v_fma_f32 v15, v36, v1, -v0
	v_fmac_f32_e32 v16, v38, v8
	v_mul_f32_e32 v0, v39, v8
	v_fma_f32 v8, v38, v9, -v0
	v_mul_f32_e32 v17, v33, v3
	v_mul_f32_e32 v0, v33, v2
	v_add_f32_e32 v1, v14, v16
	v_fmac_f32_e32 v17, v32, v2
	v_fma_f32 v18, v32, v3, -v0
	v_mul_f32_e32 v0, v35, v10
	v_fma_f32 v2, -0.5, v1, v4
	v_mul_f32_e32 v19, v35, v11
	v_fma_f32 v11, v34, v11, -v0
	v_add_f32_e32 v0, v4, v14
	v_sub_f32_e32 v1, v15, v8
	v_mov_b32_e32 v4, v2
	v_add_f32_e32 v3, v15, v8
	v_fmac_f32_e32 v19, v34, v10
	v_fmac_f32_e32 v4, 0xbf5db3d7, v1
	;; [unrolled: 1-line block ×3, first 2 shown]
	v_add_f32_e32 v1, v5, v15
	v_fma_f32 v3, -0.5, v3, v5
	v_add_f32_e32 v1, v1, v8
	v_sub_f32_e32 v8, v14, v16
	v_mov_b32_e32 v5, v3
	v_add_f32_e32 v9, v17, v19
	v_fmac_f32_e32 v5, 0x3f5db3d7, v8
	v_fmac_f32_e32 v3, 0xbf5db3d7, v8
	v_add_f32_e32 v8, v6, v17
	v_fma_f32 v6, -0.5, v9, v6
	v_sub_f32_e32 v9, v18, v11
	v_mov_b32_e32 v10, v6
	v_fmac_f32_e32 v10, 0xbf5db3d7, v9
	v_fmac_f32_e32 v6, 0x3f5db3d7, v9
	v_add_f32_e32 v9, v7, v18
	v_add_f32_e32 v9, v9, v11
	;; [unrolled: 1-line block ×3, first 2 shown]
	v_fmac_f32_e32 v7, -0.5, v11
	v_add_f32_e32 v0, v0, v16
	v_sub_f32_e32 v14, v17, v19
	v_mov_b32_e32 v11, v7
	v_add_f32_e32 v8, v8, v19
	v_fmac_f32_e32 v11, 0x3f5db3d7, v14
	v_fmac_f32_e32 v7, 0xbf5db3d7, v14
	ds_write_b64 v56, v[4:5] offset:3888
	ds_write_b64 v56, v[2:3] offset:7776
	ds_write2_b64 v56, v[0:1], v[8:9] offset1:243
	ds_write_b64 v56, v[10:11] offset:5832
	ds_write_b64 v56, v[6:7] offset:9720
	s_waitcnt lgkmcnt(0)
	s_barrier
	ds_read2_b64 v[0:3], v56 offset1:243
	s_mov_b32 s4, 0xe0bf08c7
	s_mov_b32 s5, 0x3f467980
	v_mad_u64_u32 v[7:8], s[8:9], s0, v55, 0
	s_waitcnt lgkmcnt(0)
	v_mul_f32_e32 v5, v52, v1
	v_fmac_f32_e32 v5, v51, v0
	v_cvt_f64_f32_e32 v[5:6], v5
	v_mul_f32_e32 v0, v52, v0
	v_fma_f32 v0, v51, v1, -v0
	v_cvt_f64_f32_e32 v[0:1], v0
	v_mul_f64 v[5:6], v[5:6], s[4:5]
	v_mov_b32_e32 v4, v13
	v_mul_f64 v[0:1], v[0:1], s[4:5]
	v_mad_u64_u32 v[9:10], s[2:3], s3, v40, v[4:5]
	v_mov_b32_e32 v4, v8
	v_mad_u64_u32 v[10:11], s[2:3], s1, v55, v[4:5]
	v_mov_b32_e32 v13, v9
	v_mul_f32_e32 v9, v50, v3
	v_fmac_f32_e32 v9, v49, v2
	v_mov_b32_e32 v8, v10
	v_cvt_f64_f32_e32 v[9:10], v9
	v_cvt_f32_f64_e32 v4, v[5:6]
	v_cvt_f32_f64_e32 v5, v[0:1]
	v_lshlrev_b64 v[0:1], 3, v[12:13]
	v_mul_f32_e32 v2, v50, v2
	v_fma_f32 v2, v49, v3, -v2
	v_mov_b32_e32 v6, s7
	v_cvt_f64_f32_e32 v[2:3], v2
	v_add_co_u32_e32 v11, vcc, s6, v0
	v_addc_co_u32_e32 v12, vcc, v6, v1, vcc
	v_lshlrev_b64 v[0:1], 3, v[7:8]
	v_mul_f64 v[6:7], v[9:10], s[4:5]
	v_add_co_u32_e32 v10, vcc, v11, v0
	v_mul_f64 v[8:9], v[2:3], s[4:5]
	v_addc_co_u32_e32 v11, vcc, v12, v1, vcc
	ds_read2_b64 v[0:3], v58 offset0:6 offset1:249
	global_store_dwordx2 v[10:11], v[4:5], off
	v_cvt_f32_f64_e32 v4, v[6:7]
	s_mulk_i32 s1, 0x798
	s_mul_hi_u32 s2, s0, 0x798
	s_waitcnt lgkmcnt(0)
	v_mul_f32_e32 v6, v46, v1
	v_fmac_f32_e32 v6, v45, v0
	v_cvt_f64_f32_e32 v[6:7], v6
	v_mul_f32_e32 v0, v46, v0
	v_fma_f32 v0, v45, v1, -v0
	v_cvt_f32_f64_e32 v5, v[8:9]
	v_mul_f64 v[6:7], v[6:7], s[4:5]
	v_cvt_f64_f32_e32 v[0:1], v0
	s_add_i32 s1, s2, s1
	s_mulk_i32 s0, 0x798
	v_mov_b32_e32 v9, s1
	v_add_co_u32_e32 v8, vcc, s0, v10
	v_addc_co_u32_e32 v9, vcc, v11, v9, vcc
	global_store_dwordx2 v[8:9], v[4:5], off
	v_mul_f64 v[0:1], v[0:1], s[4:5]
	v_mul_f32_e32 v5, v48, v3
	v_fmac_f32_e32 v5, v47, v2
	v_cvt_f32_f64_e32 v4, v[6:7]
	v_cvt_f64_f32_e32 v[6:7], v5
	v_mul_f32_e32 v2, v48, v2
	v_fma_f32 v2, v47, v3, -v2
	v_cvt_f64_f32_e32 v[2:3], v2
	v_mul_f64 v[6:7], v[6:7], s[4:5]
	v_cvt_f32_f64_e32 v5, v[0:1]
	v_mov_b32_e32 v0, s1
	v_add_co_u32_e32 v8, vcc, s0, v8
	v_mul_f64 v[10:11], v[2:3], s[4:5]
	v_addc_co_u32_e32 v9, vcc, v9, v0, vcc
	ds_read2_b64 v[0:3], v57 offset0:12 offset1:255
	global_store_dwordx2 v[8:9], v[4:5], off
	v_cvt_f32_f64_e32 v4, v[6:7]
	v_add_co_u32_e32 v8, vcc, s0, v8
	s_waitcnt lgkmcnt(0)
	v_mul_f32_e32 v6, v44, v1
	v_fmac_f32_e32 v6, v43, v0
	v_mul_f32_e32 v0, v44, v0
	v_fma_f32 v0, v43, v1, -v0
	v_cvt_f32_f64_e32 v5, v[10:11]
	v_cvt_f64_f32_e32 v[6:7], v6
	v_cvt_f64_f32_e32 v[0:1], v0
	v_mov_b32_e32 v10, s1
	v_addc_co_u32_e32 v9, vcc, v9, v10, vcc
	global_store_dwordx2 v[8:9], v[4:5], off
	v_mul_f64 v[4:5], v[6:7], s[4:5]
	v_mul_f64 v[0:1], v[0:1], s[4:5]
	v_mul_f32_e32 v6, v42, v3
	v_fmac_f32_e32 v6, v41, v2
	v_mul_f32_e32 v2, v42, v2
	v_fma_f32 v2, v41, v3, -v2
	v_cvt_f64_f32_e32 v[6:7], v6
	v_cvt_f64_f32_e32 v[2:3], v2
	v_cvt_f32_f64_e32 v4, v[4:5]
	v_cvt_f32_f64_e32 v5, v[0:1]
	v_mul_f64 v[0:1], v[6:7], s[4:5]
	v_mul_f64 v[2:3], v[2:3], s[4:5]
	v_mov_b32_e32 v7, s1
	v_add_co_u32_e32 v6, vcc, s0, v8
	v_addc_co_u32_e32 v7, vcc, v9, v7, vcc
	global_store_dwordx2 v[6:7], v[4:5], off
	v_cvt_f32_f64_e32 v0, v[0:1]
	v_cvt_f32_f64_e32 v1, v[2:3]
	v_mov_b32_e32 v3, s1
	v_add_co_u32_e32 v2, vcc, s0, v6
	v_addc_co_u32_e32 v3, vcc, v7, v3, vcc
	global_store_dwordx2 v[2:3], v[0:1], off
.LBB0_2:
	s_endpgm
	.section	.rodata,"a",@progbits
	.p2align	6, 0x0
	.amdhsa_kernel bluestein_single_back_len1458_dim1_sp_op_CI_CI
		.amdhsa_group_segment_fixed_size 11664
		.amdhsa_private_segment_fixed_size 0
		.amdhsa_kernarg_size 104
		.amdhsa_user_sgpr_count 6
		.amdhsa_user_sgpr_private_segment_buffer 1
		.amdhsa_user_sgpr_dispatch_ptr 0
		.amdhsa_user_sgpr_queue_ptr 0
		.amdhsa_user_sgpr_kernarg_segment_ptr 1
		.amdhsa_user_sgpr_dispatch_id 0
		.amdhsa_user_sgpr_flat_scratch_init 0
		.amdhsa_user_sgpr_private_segment_size 0
		.amdhsa_uses_dynamic_stack 0
		.amdhsa_system_sgpr_private_segment_wavefront_offset 0
		.amdhsa_system_sgpr_workgroup_id_x 1
		.amdhsa_system_sgpr_workgroup_id_y 0
		.amdhsa_system_sgpr_workgroup_id_z 0
		.amdhsa_system_sgpr_workgroup_info 0
		.amdhsa_system_vgpr_workitem_id 0
		.amdhsa_next_free_vgpr 89
		.amdhsa_next_free_sgpr 20
		.amdhsa_reserve_vcc 1
		.amdhsa_reserve_flat_scratch 0
		.amdhsa_float_round_mode_32 0
		.amdhsa_float_round_mode_16_64 0
		.amdhsa_float_denorm_mode_32 3
		.amdhsa_float_denorm_mode_16_64 3
		.amdhsa_dx10_clamp 1
		.amdhsa_ieee_mode 1
		.amdhsa_fp16_overflow 0
		.amdhsa_exception_fp_ieee_invalid_op 0
		.amdhsa_exception_fp_denorm_src 0
		.amdhsa_exception_fp_ieee_div_zero 0
		.amdhsa_exception_fp_ieee_overflow 0
		.amdhsa_exception_fp_ieee_underflow 0
		.amdhsa_exception_fp_ieee_inexact 0
		.amdhsa_exception_int_div_zero 0
	.end_amdhsa_kernel
	.text
.Lfunc_end0:
	.size	bluestein_single_back_len1458_dim1_sp_op_CI_CI, .Lfunc_end0-bluestein_single_back_len1458_dim1_sp_op_CI_CI
                                        ; -- End function
	.section	.AMDGPU.csdata,"",@progbits
; Kernel info:
; codeLenInByte = 6008
; NumSgprs: 24
; NumVgprs: 89
; ScratchSize: 0
; MemoryBound: 0
; FloatMode: 240
; IeeeMode: 1
; LDSByteSize: 11664 bytes/workgroup (compile time only)
; SGPRBlocks: 2
; VGPRBlocks: 22
; NumSGPRsForWavesPerEU: 24
; NumVGPRsForWavesPerEU: 89
; Occupancy: 2
; WaveLimiterHint : 1
; COMPUTE_PGM_RSRC2:SCRATCH_EN: 0
; COMPUTE_PGM_RSRC2:USER_SGPR: 6
; COMPUTE_PGM_RSRC2:TRAP_HANDLER: 0
; COMPUTE_PGM_RSRC2:TGID_X_EN: 1
; COMPUTE_PGM_RSRC2:TGID_Y_EN: 0
; COMPUTE_PGM_RSRC2:TGID_Z_EN: 0
; COMPUTE_PGM_RSRC2:TIDIG_COMP_CNT: 0
	.type	__hip_cuid_20626066d305628f,@object ; @__hip_cuid_20626066d305628f
	.section	.bss,"aw",@nobits
	.globl	__hip_cuid_20626066d305628f
__hip_cuid_20626066d305628f:
	.byte	0                               ; 0x0
	.size	__hip_cuid_20626066d305628f, 1

	.ident	"AMD clang version 19.0.0git (https://github.com/RadeonOpenCompute/llvm-project roc-6.4.0 25133 c7fe45cf4b819c5991fe208aaa96edf142730f1d)"
	.section	".note.GNU-stack","",@progbits
	.addrsig
	.addrsig_sym __hip_cuid_20626066d305628f
	.amdgpu_metadata
---
amdhsa.kernels:
  - .args:
      - .actual_access:  read_only
        .address_space:  global
        .offset:         0
        .size:           8
        .value_kind:     global_buffer
      - .actual_access:  read_only
        .address_space:  global
        .offset:         8
        .size:           8
        .value_kind:     global_buffer
      - .actual_access:  read_only
        .address_space:  global
        .offset:         16
        .size:           8
        .value_kind:     global_buffer
      - .actual_access:  read_only
        .address_space:  global
        .offset:         24
        .size:           8
        .value_kind:     global_buffer
      - .actual_access:  read_only
        .address_space:  global
        .offset:         32
        .size:           8
        .value_kind:     global_buffer
      - .offset:         40
        .size:           8
        .value_kind:     by_value
      - .address_space:  global
        .offset:         48
        .size:           8
        .value_kind:     global_buffer
      - .address_space:  global
        .offset:         56
        .size:           8
        .value_kind:     global_buffer
      - .address_space:  global
        .offset:         64
        .size:           8
        .value_kind:     global_buffer
      - .address_space:  global
        .offset:         72
        .size:           8
        .value_kind:     global_buffer
      - .offset:         80
        .size:           4
        .value_kind:     by_value
      - .address_space:  global
        .offset:         88
        .size:           8
        .value_kind:     global_buffer
      - .address_space:  global
        .offset:         96
        .size:           8
        .value_kind:     global_buffer
    .group_segment_fixed_size: 11664
    .kernarg_segment_align: 8
    .kernarg_segment_size: 104
    .language:       OpenCL C
    .language_version:
      - 2
      - 0
    .max_flat_workgroup_size: 243
    .name:           bluestein_single_back_len1458_dim1_sp_op_CI_CI
    .private_segment_fixed_size: 0
    .sgpr_count:     24
    .sgpr_spill_count: 0
    .symbol:         bluestein_single_back_len1458_dim1_sp_op_CI_CI.kd
    .uniform_work_group_size: 1
    .uses_dynamic_stack: false
    .vgpr_count:     89
    .vgpr_spill_count: 0
    .wavefront_size: 64
amdhsa.target:   amdgcn-amd-amdhsa--gfx906
amdhsa.version:
  - 1
  - 2
...

	.end_amdgpu_metadata
